;; amdgpu-corpus repo=ROCm/rocFFT kind=compiled arch=gfx950 opt=O3
	.text
	.amdgcn_target "amdgcn-amd-amdhsa--gfx950"
	.amdhsa_code_object_version 6
	.protected	fft_rtc_back_len100_factors_10_10_wgs_100_tpt_10_sp_op_CI_CI_sbcr_C2R_dirReg_intrinsicReadWrite ; -- Begin function fft_rtc_back_len100_factors_10_10_wgs_100_tpt_10_sp_op_CI_CI_sbcr_C2R_dirReg_intrinsicReadWrite
	.globl	fft_rtc_back_len100_factors_10_10_wgs_100_tpt_10_sp_op_CI_CI_sbcr_C2R_dirReg_intrinsicReadWrite
	.p2align	8
	.type	fft_rtc_back_len100_factors_10_10_wgs_100_tpt_10_sp_op_CI_CI_sbcr_C2R_dirReg_intrinsicReadWrite,@function
fft_rtc_back_len100_factors_10_10_wgs_100_tpt_10_sp_op_CI_CI_sbcr_C2R_dirReg_intrinsicReadWrite: ; @fft_rtc_back_len100_factors_10_10_wgs_100_tpt_10_sp_op_CI_CI_sbcr_C2R_dirReg_intrinsicReadWrite
; %bb.0:
	s_load_dwordx4 s[20:23], s[0:1], 0x10
	s_load_dwordx2 s[30:31], s[0:1], 0x20
	s_mov_b32 s3, 0
	s_mov_b64 s[28:29], 0
	s_waitcnt lgkmcnt(0)
	s_load_dwordx2 s[24:25], s[20:21], 0x8
	s_waitcnt lgkmcnt(0)
	s_add_u32 s4, s24, -1
	s_addc_u32 s5, s25, -1
	s_add_u32 s6, 0, 0x99986000
	s_addc_u32 s7, 0, 0x59
	s_mul_hi_u32 s9, s6, -10
	s_add_i32 s7, s7, 0x19999940
	s_sub_i32 s9, s9, s6
	s_mul_i32 s12, s7, -10
	s_mul_i32 s8, s6, -10
	s_add_i32 s9, s9, s12
	s_mul_hi_u32 s10, s7, s8
	s_mul_i32 s11, s7, s8
	s_mul_i32 s13, s6, s9
	s_mul_hi_u32 s8, s6, s8
	s_mul_hi_u32 s12, s6, s9
	s_add_u32 s8, s8, s13
	s_addc_u32 s12, 0, s12
	s_add_u32 s8, s8, s11
	s_mul_hi_u32 s13, s7, s9
	s_addc_u32 s8, s12, s10
	s_addc_u32 s10, s13, 0
	s_mul_i32 s9, s7, s9
	s_add_u32 s8, s8, s9
	v_mov_b32_e32 v1, s8
	s_addc_u32 s9, 0, s10
	v_add_co_u32_e32 v1, vcc, s6, v1
	s_cmp_lg_u64 vcc, 0
	s_addc_u32 s6, s7, s9
	v_readfirstlane_b32 s9, v1
	s_mul_i32 s8, s4, s6
	s_mul_hi_u32 s10, s4, s9
	s_mul_hi_u32 s7, s4, s6
	s_add_u32 s8, s10, s8
	s_addc_u32 s7, 0, s7
	s_mul_hi_u32 s11, s5, s9
	s_mul_i32 s9, s5, s9
	s_add_u32 s8, s8, s9
	s_mul_hi_u32 s10, s5, s6
	s_addc_u32 s7, s7, s11
	s_addc_u32 s8, s10, 0
	s_mul_i32 s6, s5, s6
	s_add_u32 s6, s7, s6
	s_addc_u32 s7, 0, s8
	s_add_u32 s8, s6, 1
	s_addc_u32 s9, s7, 0
	s_add_u32 s10, s6, 2
	s_mul_i32 s12, s7, 10
	s_mul_hi_u32 s13, s6, 10
	s_addc_u32 s11, s7, 0
	s_add_i32 s13, s13, s12
	s_mul_i32 s12, s6, 10
	v_mov_b32_e32 v1, s12
	v_sub_co_u32_e32 v1, vcc, s4, v1
	s_cmp_lg_u64 vcc, 0
	s_subb_u32 s4, s5, s13
	v_subrev_co_u32_e32 v2, vcc, 10, v1
	s_cmp_lg_u64 vcc, 0
	s_subb_u32 s5, s4, 0
	v_readfirstlane_b32 s12, v2
	s_cmp_gt_u32 s12, 9
	s_cselect_b32 s12, -1, 0
	s_cmp_eq_u32 s5, 0
	s_cselect_b32 s5, s12, -1
	s_cmp_lg_u32 s5, 0
	s_cselect_b32 s5, s10, s8
	s_cselect_b32 s8, s11, s9
	v_readfirstlane_b32 s9, v1
	s_cmp_gt_u32 s9, 9
	s_cselect_b32 s9, -1, 0
	s_cmp_eq_u32 s4, 0
	s_cselect_b32 s4, s9, -1
	s_cmp_lg_u32 s4, 0
	s_cselect_b32 s5, s5, s6
	s_cselect_b32 s4, s8, s7
	s_add_u32 s34, s5, 1
	s_addc_u32 s35, s4, 0
	v_mov_b64_e32 v[2:3], s[34:35]
	v_cmp_lt_u64_e32 vcc, s[2:3], v[2:3]
	s_cbranch_vccnz .LBB0_2
; %bb.1:
	v_cvt_f32_u32_e32 v1, s34
	s_sub_i32 s4, 0, s34
	s_mov_b32 s29, s3
	v_rcp_iflag_f32_e32 v1, v1
	s_nop 0
	v_mul_f32_e32 v1, 0x4f7ffffe, v1
	v_cvt_u32_f32_e32 v1, v1
	s_nop 0
	v_readfirstlane_b32 s5, v1
	s_mul_i32 s4, s4, s5
	s_mul_hi_u32 s4, s5, s4
	s_add_i32 s5, s5, s4
	s_mul_hi_u32 s4, s2, s5
	s_mul_i32 s6, s4, s34
	s_sub_i32 s6, s2, s6
	s_add_i32 s5, s4, 1
	s_sub_i32 s7, s6, s34
	s_cmp_ge_u32 s6, s34
	s_cselect_b32 s4, s5, s4
	s_cselect_b32 s6, s7, s6
	s_add_i32 s5, s4, 1
	s_cmp_ge_u32 s6, s34
	s_cselect_b32 s28, s5, s4
.LBB0_2:
	s_load_dwordx4 s[4:7], s[0:1], 0x58
	s_load_dwordx4 s[12:15], s[0:1], 0x0
	;; [unrolled: 1-line block ×4, first 2 shown]
	s_mul_i32 s0, s28, s35
	s_mul_hi_u32 s1, s28, s34
	s_add_i32 s1, s1, s0
	s_mul_i32 s0, s28, s34
	s_sub_u32 s0, s2, s0
	s_subb_u32 s1, 0, s1
	s_mul_i32 s1, s1, 10
	s_mul_hi_u32 s26, s0, 10
	s_add_i32 s27, s26, s1
	s_mul_i32 s26, s0, 10
	s_waitcnt lgkmcnt(0)
	s_mul_i32 s0, s18, s27
	s_mul_hi_u32 s1, s18, s26
	s_add_i32 s0, s1, s0
	s_mul_i32 s1, s19, s26
	s_add_i32 s49, s0, s1
	s_mul_i32 s0, s10, s27
	s_mul_hi_u32 s1, s10, s26
	s_add_i32 s0, s1, s0
	s_mul_i32 s1, s11, s26
	s_add_i32 s33, s0, s1
	v_cmp_lt_u64_e64 s[0:1], s[14:15], 3
	s_mul_i32 s50, s18, s26
	s_mul_i32 s48, s10, s26
	s_and_b64 vcc, exec, s[0:1]
	s_cbranch_vccnz .LBB0_12
; %bb.3:
	s_add_u32 s36, s30, 16
	s_addc_u32 s37, s31, 0
	s_add_u32 s38, s22, 16
	s_addc_u32 s39, s23, 0
	;; [unrolled: 2-line block ×3, first 2 shown]
	s_mov_b64 s[40:41], 2
	s_mov_b32 s42, 0
	v_mov_b64_e32 v[2:3], s[14:15]
.LBB0_4:                                ; =>This Inner Loop Header: Depth=1
	s_load_dwordx2 s[44:45], s[20:21], 0x0
	s_waitcnt lgkmcnt(0)
	s_or_b64 s[0:1], s[28:29], s[44:45]
	s_mov_b32 s43, s1
	s_cmp_lg_u64 s[42:43], 0
	s_cbranch_scc0 .LBB0_9
; %bb.5:                                ;   in Loop: Header=BB0_4 Depth=1
	v_cvt_f32_u32_e32 v1, s44
	v_cvt_f32_u32_e32 v4, s45
	s_sub_u32 s0, 0, s44
	s_subb_u32 s1, 0, s45
	v_fmac_f32_e32 v1, 0x4f800000, v4
	v_rcp_f32_e32 v1, v1
	s_nop 0
	v_mul_f32_e32 v1, 0x5f7ffffc, v1
	v_mul_f32_e32 v4, 0x2f800000, v1
	v_trunc_f32_e32 v4, v4
	v_fmac_f32_e32 v1, 0xcf800000, v4
	v_cvt_u32_f32_e32 v4, v4
	v_cvt_u32_f32_e32 v1, v1
	v_readfirstlane_b32 s43, v4
	v_readfirstlane_b32 s46, v1
	s_mul_i32 s47, s0, s43
	s_mul_hi_u32 s52, s0, s46
	s_mul_i32 s51, s1, s46
	s_add_i32 s47, s52, s47
	s_mul_i32 s53, s0, s46
	s_add_i32 s47, s47, s51
	s_mul_hi_u32 s51, s46, s47
	s_mul_i32 s52, s46, s47
	s_mul_hi_u32 s46, s46, s53
	s_add_u32 s46, s46, s52
	s_addc_u32 s51, 0, s51
	s_mul_hi_u32 s54, s43, s53
	s_mul_i32 s53, s43, s53
	s_add_u32 s46, s46, s53
	s_mul_hi_u32 s52, s43, s47
	s_addc_u32 s46, s51, s54
	s_addc_u32 s51, s52, 0
	s_mul_i32 s47, s43, s47
	s_add_u32 s46, s46, s47
	s_addc_u32 s47, 0, s51
	v_add_co_u32_e32 v1, vcc, s46, v1
	s_cmp_lg_u64 vcc, 0
	s_addc_u32 s43, s43, s47
	v_readfirstlane_b32 s47, v1
	s_mul_i32 s46, s0, s43
	s_mul_hi_u32 s51, s0, s47
	s_add_i32 s46, s51, s46
	s_mul_i32 s1, s1, s47
	s_add_i32 s46, s46, s1
	s_mul_i32 s0, s0, s47
	s_mul_hi_u32 s51, s43, s0
	s_mul_i32 s52, s43, s0
	s_mul_i32 s54, s47, s46
	s_mul_hi_u32 s0, s47, s0
	s_mul_hi_u32 s53, s47, s46
	s_add_u32 s0, s0, s54
	s_addc_u32 s47, 0, s53
	s_add_u32 s0, s0, s52
	s_mul_hi_u32 s1, s43, s46
	s_addc_u32 s0, s47, s51
	s_addc_u32 s1, s1, 0
	s_mul_i32 s46, s43, s46
	s_add_u32 s0, s0, s46
	s_addc_u32 s1, 0, s1
	v_add_co_u32_e32 v1, vcc, s0, v1
	s_cmp_lg_u64 vcc, 0
	s_addc_u32 s0, s43, s1
	v_readfirstlane_b32 s46, v1
	s_mul_i32 s43, s28, s0
	s_mul_hi_u32 s47, s28, s46
	s_mul_hi_u32 s1, s28, s0
	s_add_u32 s43, s47, s43
	s_addc_u32 s1, 0, s1
	s_mul_hi_u32 s51, s29, s46
	s_mul_i32 s46, s29, s46
	s_add_u32 s43, s43, s46
	s_mul_hi_u32 s47, s29, s0
	s_addc_u32 s1, s1, s51
	s_addc_u32 s43, s47, 0
	s_mul_i32 s0, s29, s0
	s_add_u32 s46, s1, s0
	s_addc_u32 s43, 0, s43
	s_mul_i32 s0, s44, s43
	s_mul_hi_u32 s1, s44, s46
	s_add_i32 s0, s1, s0
	s_mul_i32 s1, s45, s46
	s_add_i32 s47, s0, s1
	s_mul_i32 s1, s44, s46
	v_mov_b32_e32 v1, s1
	s_sub_i32 s0, s29, s47
	v_sub_co_u32_e32 v1, vcc, s28, v1
	s_cmp_lg_u64 vcc, 0
	s_subb_u32 s51, s0, s45
	v_subrev_co_u32_e64 v4, s[0:1], s44, v1
	s_cmp_lg_u64 s[0:1], 0
	s_subb_u32 s0, s51, 0
	s_cmp_ge_u32 s0, s45
	v_readfirstlane_b32 s51, v4
	s_cselect_b32 s1, -1, 0
	s_cmp_ge_u32 s51, s44
	s_cselect_b32 s51, -1, 0
	s_cmp_eq_u32 s0, s45
	s_cselect_b32 s0, s51, s1
	s_add_u32 s1, s46, 1
	s_addc_u32 s51, s43, 0
	s_add_u32 s52, s46, 2
	s_addc_u32 s53, s43, 0
	s_cmp_lg_u32 s0, 0
	s_cselect_b32 s0, s52, s1
	s_cselect_b32 s1, s53, s51
	s_cmp_lg_u64 vcc, 0
	s_subb_u32 s47, s29, s47
	s_cmp_ge_u32 s47, s45
	v_readfirstlane_b32 s52, v1
	s_cselect_b32 s51, -1, 0
	s_cmp_ge_u32 s52, s44
	s_cselect_b32 s52, -1, 0
	s_cmp_eq_u32 s47, s45
	s_cselect_b32 s47, s52, s51
	s_cmp_lg_u32 s47, 0
	s_cselect_b32 s1, s1, s43
	s_cselect_b32 s0, s0, s46
	s_cbranch_execnz .LBB0_7
.LBB0_6:                                ;   in Loop: Header=BB0_4 Depth=1
	v_cvt_f32_u32_e32 v1, s44
	s_sub_i32 s0, 0, s44
	v_rcp_iflag_f32_e32 v1, v1
	s_nop 0
	v_mul_f32_e32 v1, 0x4f7ffffe, v1
	v_cvt_u32_f32_e32 v1, v1
	s_nop 0
	v_readfirstlane_b32 s1, v1
	s_mul_i32 s0, s0, s1
	s_mul_hi_u32 s0, s1, s0
	s_add_i32 s1, s1, s0
	s_mul_hi_u32 s0, s28, s1
	s_mul_i32 s43, s0, s44
	s_sub_i32 s43, s28, s43
	s_add_i32 s1, s0, 1
	s_sub_i32 s46, s43, s44
	s_cmp_ge_u32 s43, s44
	s_cselect_b32 s0, s1, s0
	s_cselect_b32 s43, s46, s43
	s_add_i32 s1, s0, 1
	s_cmp_ge_u32 s43, s44
	s_cselect_b32 s0, s1, s0
	s_mov_b32 s1, s42
.LBB0_7:                                ;   in Loop: Header=BB0_4 Depth=1
	s_mul_i32 s35, s44, s35
	s_mul_hi_u32 s43, s44, s34
	s_add_i32 s35, s43, s35
	s_mul_i32 s43, s45, s34
	s_add_i32 s35, s35, s43
	s_mul_i32 s43, s0, s45
	s_mul_hi_u32 s45, s0, s44
	s_load_dwordx2 s[46:47], s[38:39], 0x0
	s_add_i32 s43, s45, s43
	s_mul_i32 s45, s1, s44
	s_mul_i32 s34, s44, s34
	s_add_i32 s43, s43, s45
	s_mul_i32 s44, s0, s44
	s_sub_u32 s44, s28, s44
	s_subb_u32 s43, s29, s43
	s_waitcnt lgkmcnt(0)
	s_mul_i32 s28, s46, s43
	s_mul_hi_u32 s29, s46, s44
	s_add_i32 s45, s29, s28
	s_load_dwordx2 s[28:29], s[36:37], 0x0
	s_mul_i32 s47, s47, s44
	s_add_i32 s45, s45, s47
	s_mul_i32 s46, s46, s44
	s_add_u32 s50, s46, s50
	s_addc_u32 s49, s45, s49
	s_waitcnt lgkmcnt(0)
	s_mul_i32 s43, s28, s43
	s_mul_hi_u32 s45, s28, s44
	s_add_i32 s43, s45, s43
	s_mul_i32 s29, s29, s44
	s_add_i32 s43, s43, s29
	s_mul_i32 s28, s28, s44
	s_add_u32 s48, s28, s48
	s_addc_u32 s33, s43, s33
	s_add_u32 s40, s40, 1
	s_addc_u32 s41, s41, 0
	;; [unrolled: 2-line block ×4, first 2 shown]
	s_add_u32 s20, s20, 8
	v_cmp_ge_u64_e32 vcc, s[40:41], v[2:3]
	s_addc_u32 s21, s21, 0
	s_cbranch_vccnz .LBB0_10
; %bb.8:                                ;   in Loop: Header=BB0_4 Depth=1
	s_mov_b64 s[28:29], s[0:1]
	s_branch .LBB0_4
.LBB0_9:                                ;   in Loop: Header=BB0_4 Depth=1
                                        ; implicit-def: $sgpr0_sgpr1
	s_branch .LBB0_6
.LBB0_10:
	v_mov_b64_e32 v[2:3], s[34:35]
	v_cmp_lt_u64_e32 vcc, s[2:3], v[2:3]
	s_mov_b64 s[28:29], 0
	s_cbranch_vccnz .LBB0_12
; %bb.11:
	v_cvt_f32_u32_e32 v1, s34
	s_sub_i32 s0, 0, s34
	v_rcp_iflag_f32_e32 v1, v1
	s_nop 0
	v_mul_f32_e32 v1, 0x4f7ffffe, v1
	v_cvt_u32_f32_e32 v1, v1
	s_nop 0
	v_readfirstlane_b32 s1, v1
	s_mul_i32 s0, s0, s1
	s_mul_hi_u32 s0, s1, s0
	s_add_i32 s1, s1, s0
	s_mul_hi_u32 s0, s2, s1
	s_mul_i32 s3, s0, s34
	s_sub_i32 s2, s2, s3
	s_add_i32 s1, s0, 1
	s_sub_i32 s3, s2, s34
	s_cmp_ge_u32 s2, s34
	s_cselect_b32 s0, s1, s0
	s_cselect_b32 s2, s3, s2
	s_add_i32 s1, s0, 1
	s_cmp_ge_u32 s2, s34
	s_cselect_b32 s28, s1, s0
.LBB0_12:
	s_lshl_b64 s[0:1], s[14:15], 3
	s_add_u32 s2, s22, s0
	s_addc_u32 s3, s23, s1
	s_load_dwordx2 s[2:3], s[2:3], 0x0
	v_mul_u32_u24_e32 v1, 0x199a, v0
	v_lshrrev_b32_e32 v4, 16, v1
	v_mov_b64_e32 v[2:3], s[24:25]
	v_mov_b32_e32 v5, 0
	s_waitcnt lgkmcnt(0)
	s_mul_i32 s3, s3, s28
	s_mul_hi_u32 s14, s2, s28
	s_mul_i32 s2, s2, s28
	s_add_i32 s14, s14, s3
	s_add_u32 s2, s2, s50
	s_addc_u32 s3, s14, s49
	s_add_u32 s0, s30, s0
	s_addc_u32 s1, s31, s1
	s_load_dwordx2 s[14:15], s[0:1], 0x0
	s_add_u32 s20, s26, 10
	s_addc_u32 s21, s27, 0
	v_cmp_le_u64_e64 s[0:1], s[20:21], v[2:3]
	v_mul_lo_u16_e32 v1, 10, v4
	v_sub_u16_e32 v2, v0, v1
	v_mov_b32_e32 v3, v5
	s_and_b64 vcc, exec, s[0:1]
	s_cbranch_vccz .LBB0_16
; %bb.13:
	v_mad_u64_u32 v[6:7], s[22:23], s18, v2, 0
	v_mov_b32_e32 v8, v7
	v_mad_u64_u32 v[8:9], s[22:23], s19, v2, v[8:9]
	v_mov_b32_e32 v7, v8
	;; [unrolled: 2-line block ×3, first 2 shown]
	v_mad_u64_u32 v[10:11], s[22:23], s17, v4, v[10:11]
	s_lshl_b64 s[22:23], s[2:3], 3
	s_add_u32 s22, s4, s22
	s_addc_u32 s23, s5, s23
	v_add_u32_e32 v1, 10, v4
	v_mov_b32_e32 v9, v10
	v_lshl_add_u64 v[6:7], v[6:7], 3, s[22:23]
	v_mad_u64_u32 v[10:11], s[22:23], s16, v1, 0
	v_mov_b32_e32 v12, v11
	v_mad_u64_u32 v[12:13], s[22:23], s17, v1, v[12:13]
	v_add_u32_e32 v1, 20, v4
	v_mov_b32_e32 v11, v12
	v_mad_u64_u32 v[12:13], s[22:23], s16, v1, 0
	v_mov_b32_e32 v14, v13
	v_mad_u64_u32 v[14:15], s[22:23], s17, v1, v[14:15]
	v_add_u32_e32 v1, 30, v4
	v_mov_b32_e32 v13, v14
	v_mad_u64_u32 v[14:15], s[22:23], s16, v1, 0
	v_mov_b32_e32 v16, v15
	v_mad_u64_u32 v[16:17], s[22:23], s17, v1, v[16:17]
	v_lshl_add_u64 v[8:9], v[8:9], 3, v[6:7]
	v_mov_b32_e32 v15, v16
	v_add_u32_e32 v1, 40, v4
	v_lshl_add_u64 v[10:11], v[10:11], 3, v[6:7]
	v_lshl_add_u64 v[12:13], v[12:13], 3, v[6:7]
	v_lshl_add_u64 v[14:15], v[14:15], 3, v[6:7]
	global_load_dwordx2 v[16:17], v[8:9], off
	global_load_dwordx2 v[18:19], v[10:11], off
	;; [unrolled: 1-line block ×4, first 2 shown]
	v_mad_u64_u32 v[8:9], s[22:23], s16, v1, 0
	v_mov_b32_e32 v10, v9
	v_mad_u64_u32 v[10:11], s[22:23], s17, v1, v[10:11]
	v_add_u32_e32 v1, 50, v4
	v_mov_b32_e32 v9, v10
	v_mad_u64_u32 v[10:11], s[22:23], s16, v1, 0
	v_mov_b32_e32 v12, v11
	v_mad_u64_u32 v[12:13], s[22:23], s17, v1, v[12:13]
	v_add_u32_e32 v1, 60, v4
	v_mov_b32_e32 v11, v12
	;; [unrolled: 5-line block ×3, first 2 shown]
	v_mad_u64_u32 v[14:15], s[22:23], s16, v1, 0
	v_mov_b32_e32 v24, v15
	v_mad_u64_u32 v[24:25], s[22:23], s17, v1, v[24:25]
	v_lshl_add_u64 v[8:9], v[8:9], 3, v[6:7]
	v_mov_b32_e32 v15, v24
	v_or_b32_e32 v1, 0x50, v4
	v_lshl_add_u64 v[10:11], v[10:11], 3, v[6:7]
	v_lshl_add_u64 v[12:13], v[12:13], 3, v[6:7]
	;; [unrolled: 1-line block ×3, first 2 shown]
	global_load_dwordx2 v[24:25], v[8:9], off
	global_load_dwordx2 v[26:27], v[10:11], off
	;; [unrolled: 1-line block ×4, first 2 shown]
	v_mad_u64_u32 v[8:9], s[22:23], s16, v1, 0
	v_mov_b32_e32 v10, v9
	v_mad_u64_u32 v[10:11], s[22:23], s17, v1, v[10:11]
	v_add_u32_e32 v1, 0x5a, v4
	v_mov_b32_e32 v9, v10
	v_mad_u64_u32 v[10:11], s[22:23], s16, v1, 0
	v_mov_b32_e32 v12, v11
	v_mad_u64_u32 v[12:13], s[22:23], s17, v1, v[12:13]
	v_lshl_add_u64 v[8:9], v[8:9], 3, v[6:7]
	v_mov_b32_e32 v11, v12
	v_lshl_add_u64 v[10:11], v[10:11], 3, v[6:7]
	global_load_dwordx2 v[12:13], v[8:9], off
	global_load_dwordx2 v[14:15], v[10:11], off
	v_mul_u32_u24_e32 v10, 0x328, v2
	v_lshlrev_b32_e32 v1, 3, v4
	v_add3_u32 v1, 0, v10, v1
	v_cmp_gt_u32_e32 vcc, 10, v0
	s_mov_b64 s[30:31], 0
	s_mov_b64 s[22:23], 0
	s_waitcnt vmcnt(8)
	ds_write2_b64 v1, v[16:17], v[18:19] offset1:10
	s_waitcnt vmcnt(6)
	ds_write2_b64 v1, v[20:21], v[22:23] offset0:20 offset1:30
	s_waitcnt vmcnt(4)
	ds_write2_b64 v1, v[24:25], v[26:27] offset0:40 offset1:50
	;; [unrolled: 2-line block ×4, first 2 shown]
                                        ; implicit-def: $vgpr1
	s_and_saveexec_b64 s[34:35], vcc
; %bb.14:
	s_mov_b64 s[22:23], exec
	v_or_b32_e32 v1, 0x64, v4
; %bb.15:
	s_or_b64 exec, exec, s[34:35]
	s_and_b64 vcc, exec, s[30:31]
	s_cbranch_vccnz .LBB0_17
	s_branch .LBB0_25
.LBB0_16:
	s_mov_b64 s[22:23], 0
                                        ; implicit-def: $vgpr10
                                        ; implicit-def: $vgpr6_vgpr7
                                        ; implicit-def: $vgpr1
	s_cbranch_execz .LBB0_25
.LBB0_17:
	v_lshl_add_u64 v[6:7], s[26:27], 0, v[2:3]
	v_cmp_gt_u64_e32 vcc, s[24:25], v[6:7]
                                        ; implicit-def: $vgpr10
                                        ; implicit-def: $vgpr6_vgpr7
                                        ; implicit-def: $vgpr1
	s_and_saveexec_b64 s[30:31], vcc
	s_cbranch_execz .LBB0_24
; %bb.18:
	v_mad_u64_u32 v[6:7], s[34:35], s18, v2, 0
	v_mov_b32_e32 v8, v7
	v_mad_u64_u32 v[8:9], s[18:19], s19, v2, v[8:9]
	v_mov_b32_e32 v7, v8
	v_mad_u64_u32 v[8:9], s[18:19], s16, v4, 0
	s_lshl_b64 s[2:3], s[2:3], 3
	v_mov_b32_e32 v10, v9
	s_add_u32 s2, s4, s2
	v_mad_u64_u32 v[10:11], s[18:19], s17, v4, v[10:11]
	s_addc_u32 s3, s5, s3
	v_add_u32_e32 v1, 10, v4
	v_mov_b32_e32 v9, v10
	v_lshl_add_u64 v[6:7], v[6:7], 3, s[2:3]
	v_mad_u64_u32 v[10:11], s[2:3], s16, v1, 0
	v_mov_b32_e32 v12, v11
	v_mad_u64_u32 v[12:13], s[2:3], s17, v1, v[12:13]
	v_add_u32_e32 v1, 20, v4
	v_mov_b32_e32 v11, v12
	v_mad_u64_u32 v[12:13], s[2:3], s16, v1, 0
	v_mov_b32_e32 v14, v13
	v_mad_u64_u32 v[14:15], s[2:3], s17, v1, v[14:15]
	v_add_u32_e32 v1, 30, v4
	v_mov_b32_e32 v13, v14
	v_mad_u64_u32 v[14:15], s[2:3], s16, v1, 0
	v_mov_b32_e32 v16, v15
	v_mad_u64_u32 v[16:17], s[2:3], s17, v1, v[16:17]
	v_lshl_add_u64 v[8:9], v[8:9], 3, v[6:7]
	v_mov_b32_e32 v15, v16
	v_add_u32_e32 v1, 40, v4
	v_lshl_add_u64 v[10:11], v[10:11], 3, v[6:7]
	v_lshl_add_u64 v[12:13], v[12:13], 3, v[6:7]
	;; [unrolled: 1-line block ×3, first 2 shown]
	global_load_dwordx2 v[16:17], v[8:9], off
	global_load_dwordx2 v[18:19], v[10:11], off
	;; [unrolled: 1-line block ×4, first 2 shown]
	v_mad_u64_u32 v[8:9], s[2:3], s16, v1, 0
	v_mov_b32_e32 v10, v9
	v_mad_u64_u32 v[10:11], s[2:3], s17, v1, v[10:11]
	v_add_u32_e32 v1, 50, v4
	v_mov_b32_e32 v9, v10
	v_mad_u64_u32 v[10:11], s[2:3], s16, v1, 0
	v_mov_b32_e32 v12, v11
	v_mad_u64_u32 v[12:13], s[2:3], s17, v1, v[12:13]
	v_add_u32_e32 v1, 60, v4
	v_mov_b32_e32 v11, v12
	;; [unrolled: 5-line block ×3, first 2 shown]
	v_mad_u64_u32 v[14:15], s[2:3], s16, v1, 0
	v_mov_b32_e32 v24, v15
	v_mad_u64_u32 v[24:25], s[2:3], s17, v1, v[24:25]
	v_lshl_add_u64 v[8:9], v[8:9], 3, v[6:7]
	v_mov_b32_e32 v15, v24
	v_or_b32_e32 v1, 0x50, v4
	v_lshl_add_u64 v[10:11], v[10:11], 3, v[6:7]
	v_lshl_add_u64 v[12:13], v[12:13], 3, v[6:7]
	;; [unrolled: 1-line block ×3, first 2 shown]
	global_load_dwordx2 v[24:25], v[8:9], off
	global_load_dwordx2 v[26:27], v[10:11], off
	;; [unrolled: 1-line block ×4, first 2 shown]
	v_mad_u64_u32 v[8:9], s[2:3], s16, v1, 0
	v_mov_b32_e32 v10, v9
	v_mad_u64_u32 v[10:11], s[2:3], s17, v1, v[10:11]
	v_add_u32_e32 v1, 0x5a, v4
	v_mov_b32_e32 v9, v10
	v_mad_u64_u32 v[10:11], s[2:3], s16, v1, 0
	v_mov_b32_e32 v12, v11
	v_mad_u64_u32 v[12:13], s[2:3], s17, v1, v[12:13]
	v_lshl_add_u64 v[8:9], v[8:9], 3, v[6:7]
	v_mov_b32_e32 v11, v12
	v_lshl_add_u64 v[10:11], v[10:11], 3, v[6:7]
	global_load_dwordx2 v[12:13], v[8:9], off
	global_load_dwordx2 v[14:15], v[10:11], off
	s_or_b64 s[4:5], s[20:21], s[24:25]
	v_mul_u32_u24_e32 v10, 0x328, v2
	s_mov_b32 s2, 0
	v_lshlrev_b32_e32 v1, 3, v4
	s_mov_b32 s3, s5
	v_add3_u32 v1, 0, v10, v1
	s_cmp_lg_u64 s[2:3], 0
	s_waitcnt vmcnt(8)
	ds_write2_b64 v1, v[16:17], v[18:19] offset1:10
	s_waitcnt vmcnt(6)
	ds_write2_b64 v1, v[20:21], v[22:23] offset0:20 offset1:30
	s_waitcnt vmcnt(4)
	ds_write2_b64 v1, v[24:25], v[26:27] offset0:40 offset1:50
	;; [unrolled: 2-line block ×4, first 2 shown]
	s_cbranch_scc0 .LBB0_38
; %bb.19:
	v_cvt_f32_u32_e32 v1, s24
	v_cvt_f32_u32_e32 v3, s25
	s_sub_u32 s2, 0, s24
	s_subb_u32 s3, 0, s25
	v_fmamk_f32 v1, v3, 0x4f800000, v1
	v_rcp_f32_e32 v1, v1
	s_nop 0
	v_mul_f32_e32 v1, 0x5f7ffffc, v1
	v_mul_f32_e32 v3, 0x2f800000, v1
	v_trunc_f32_e32 v3, v3
	v_fmamk_f32 v1, v3, 0xcf800000, v1
	v_cvt_u32_f32_e32 v3, v3
	v_cvt_u32_f32_e32 v1, v1
	v_readfirstlane_b32 s4, v3
	v_readfirstlane_b32 s5, v1
	s_mul_i32 s29, s2, s4
	s_mul_hi_u32 s35, s2, s5
	s_mul_i32 s34, s3, s5
	s_add_i32 s29, s35, s29
	s_add_i32 s29, s29, s34
	s_mul_i32 s36, s2, s5
	s_mul_hi_u32 s34, s5, s29
	s_mul_i32 s35, s5, s29
	s_mul_hi_u32 s5, s5, s36
	s_add_u32 s5, s5, s35
	s_addc_u32 s34, 0, s34
	s_mul_hi_u32 s37, s4, s36
	s_mul_i32 s36, s4, s36
	s_add_u32 s5, s5, s36
	s_mul_hi_u32 s35, s4, s29
	s_addc_u32 s5, s34, s37
	s_addc_u32 s34, s35, 0
	s_mul_i32 s29, s4, s29
	s_add_u32 s5, s5, s29
	s_addc_u32 s29, 0, s34
	v_add_co_u32_e32 v1, vcc, s5, v1
	s_cmp_lg_u64 vcc, 0
	s_addc_u32 s4, s4, s29
	v_readfirstlane_b32 s29, v1
	s_mul_i32 s5, s2, s4
	s_mul_hi_u32 s34, s2, s29
	s_add_i32 s5, s34, s5
	s_mul_i32 s3, s3, s29
	s_add_i32 s5, s5, s3
	s_mul_i32 s2, s2, s29
	s_mul_hi_u32 s34, s4, s2
	s_mul_i32 s35, s4, s2
	s_mul_i32 s37, s29, s5
	s_mul_hi_u32 s2, s29, s2
	s_mul_hi_u32 s36, s29, s5
	s_add_u32 s2, s2, s37
	s_addc_u32 s29, 0, s36
	s_add_u32 s2, s2, s35
	s_mul_hi_u32 s3, s4, s5
	s_addc_u32 s2, s29, s34
	s_addc_u32 s3, s3, 0
	s_mul_i32 s5, s4, s5
	s_add_u32 s2, s2, s5
	s_addc_u32 s3, 0, s3
	v_add_co_u32_e32 v1, vcc, s2, v1
	s_cmp_lg_u64 vcc, 0
	s_addc_u32 s2, s4, s3
	v_readfirstlane_b32 s5, v1
	s_mul_i32 s4, s20, s2
	s_mul_hi_u32 s29, s20, s5
	s_mul_hi_u32 s3, s20, s2
	s_add_u32 s4, s29, s4
	s_addc_u32 s3, 0, s3
	s_mul_hi_u32 s34, s21, s5
	s_mul_i32 s5, s21, s5
	s_add_u32 s4, s4, s5
	s_mul_hi_u32 s29, s21, s2
	s_addc_u32 s3, s3, s34
	s_addc_u32 s4, s29, 0
	s_mul_i32 s2, s21, s2
	s_add_u32 s2, s3, s2
	s_addc_u32 s3, 0, s4
	s_mul_i32 s3, s24, s3
	s_mul_hi_u32 s4, s24, s2
	s_add_i32 s3, s4, s3
	s_mul_i32 s4, s25, s2
	s_mul_i32 s2, s24, s2
	s_add_i32 s29, s3, s4
	v_mov_b32_e32 v1, s2
	s_sub_i32 s3, s21, s29
	v_sub_co_u32_e32 v1, vcc, s20, v1
	s_cmp_lg_u64 vcc, 0
	s_subb_u32 s34, s3, s25
	v_subrev_co_u32_e64 v3, s[2:3], s24, v1
	s_cmp_lg_u64 s[2:3], 0
	s_subb_u32 s35, s34, 0
	s_cmp_ge_u32 s35, s25
	s_cselect_b32 s36, -1, 0
	v_cmp_le_u32_e64 s[4:5], s24, v3
	s_cmp_eq_u32 s35, s25
	v_mov_b32_e32 v9, s36
	v_cndmask_b32_e64 v8, 0, -1, s[4:5]
	s_cselect_b64 s[4:5], -1, 0
	s_cmp_lg_u64 s[2:3], 0
	v_cndmask_b32_e64 v8, v9, v8, s[4:5]
	s_subb_u32 s4, s34, s25
	v_subrev_co_u32_e64 v9, s[2:3], s24, v3
	s_cmp_lg_u64 s[2:3], 0
	s_subb_u32 s4, s4, 0
	v_cmp_ne_u32_e64 s[2:3], 0, v8
	v_mov_b32_e32 v8, s35
	s_cmp_lg_u64 vcc, 0
	v_cndmask_b32_e64 v3, v3, v9, s[2:3]
	v_mov_b32_e32 v9, s4
	v_cndmask_b32_e64 v8, v8, v9, s[2:3]
	s_subb_u32 s2, s21, s29
	s_cmp_ge_u32 s2, s25
	s_cselect_b32 s3, -1, 0
	v_cmp_le_u32_e32 vcc, s24, v1
	s_cmp_eq_u32 s2, s25
	v_mov_b32_e32 v11, s3
	v_cndmask_b32_e64 v9, 0, -1, vcc
	s_cselect_b64 vcc, -1, 0
	v_cndmask_b32_e32 v9, v11, v9, vcc
	v_mov_b32_e32 v11, s2
	v_cmp_ne_u32_e32 vcc, 0, v9
	s_nop 1
	v_cndmask_b32_e32 v9, v11, v8, vcc
	v_cndmask_b32_e32 v8, v1, v3, vcc
	s_cbranch_execnz .LBB0_21
.LBB0_20:
	v_cvt_f32_u32_e32 v1, s24
	s_sub_i32 s2, 0, s24
	v_mov_b32_e32 v9, 0
	v_rcp_iflag_f32_e32 v1, v1
	s_nop 0
	v_mul_f32_e32 v1, 0x4f7ffffe, v1
	v_cvt_u32_f32_e32 v1, v1
	v_mul_lo_u32 v3, s2, v1
	v_mul_hi_u32 v3, v1, v3
	v_add_u32_e32 v1, v1, v3
	v_mul_hi_u32 v1, s20, v1
	v_mul_lo_u32 v1, v1, s24
	v_sub_u32_e32 v1, s20, v1
	v_subrev_u32_e32 v3, s24, v1
	v_cmp_le_u32_e32 vcc, s24, v1
	s_nop 1
	v_cndmask_b32_e32 v1, v1, v3, vcc
	v_subrev_u32_e32 v3, s24, v1
	v_cmp_le_u32_e32 vcc, s24, v1
	s_nop 1
	v_cndmask_b32_e32 v8, v1, v3, vcc
.LBB0_21:
	v_sub_co_u32_e32 v8, vcc, 10, v8
	v_mov_b32_e32 v1, 0
	s_nop 0
	v_subb_co_u32_e32 v9, vcc, 0, v9, vcc
	v_cmp_gt_u64_e32 vcc, v[8:9], v[0:1]
	s_mov_b64 s[2:3], s[22:23]
                                        ; implicit-def: $vgpr1
	s_and_saveexec_b64 s[4:5], vcc
; %bb.22:
	v_add_u32_e32 v1, 0x64, v4
	s_or_b64 s[2:3], s[22:23], exec
; %bb.23:
	s_or_b64 exec, exec, s[4:5]
	s_andn2_b64 s[4:5], s[22:23], exec
	s_and_b64 s[2:3], s[2:3], exec
	s_or_b64 s[22:23], s[4:5], s[2:3]
.LBB0_24:
	s_or_b64 exec, exec, s[30:31]
.LBB0_25:
	s_and_saveexec_b64 s[2:3], s[22:23]
	s_cbranch_execz .LBB0_27
; %bb.26:
	v_mad_u64_u32 v[8:9], s[4:5], s16, v1, 0
	v_mov_b32_e32 v12, v9
	v_mad_u64_u32 v[12:13], s[4:5], s17, v1, v[12:13]
	v_mov_b32_e32 v9, v12
	v_lshl_add_u64 v[6:7], v[8:9], 3, v[6:7]
	global_load_dwordx2 v[6:7], v[6:7], off
	v_add_u32_e32 v1, 0, v10
	s_waitcnt vmcnt(0)
	ds_write_b64 v1, v[6:7] offset:800
.LBB0_27:
	s_or_b64 exec, exec, s[2:3]
	s_add_u32 s2, 0, 0x99986000
	s_addc_u32 s3, 0, 0x59
	s_add_i32 s3, s3, 0x19999940
	s_mul_hi_u32 s17, s2, -10
	s_sub_i32 s17, s17, s2
	s_mul_i32 s18, s3, -10
	s_mul_i32 s4, s2, -10
	s_add_i32 s17, s17, s18
	s_mul_hi_u32 s5, s3, s4
	s_mul_i32 s16, s3, s4
	s_mul_i32 s19, s2, s17
	s_mul_hi_u32 s4, s2, s4
	s_mul_hi_u32 s18, s2, s17
	s_add_u32 s4, s4, s19
	s_addc_u32 s18, 0, s18
	s_add_u32 s4, s4, s16
	s_mul_hi_u32 s19, s3, s17
	s_addc_u32 s4, s18, s5
	s_addc_u32 s5, s19, 0
	s_mul_i32 s16, s3, s17
	s_add_u32 s4, s4, s16
	v_mov_b32_e32 v1, s4
	s_addc_u32 s5, 0, s5
	v_add_co_u32_e32 v1, vcc, s2, v1
	s_cmp_lg_u64 vcc, 0
	v_lshl_add_u64 v[4:5], s[26:27], 0, v[4:5]
	s_addc_u32 s4, s3, s5
	v_mad_u64_u32 v[6:7], s[2:3], v4, s4, 0
	v_mul_hi_u32 v8, v4, v1
	v_mov_b32_e32 v9, 0
	v_lshl_add_u64 v[6:7], v[8:9], 0, v[6:7]
	v_mad_u64_u32 v[12:13], s[2:3], v5, v1, 0
	v_add_co_u32_e32 v1, vcc, v6, v12
	v_mad_u64_u32 v[10:11], s[2:3], v5, s4, 0
	s_nop 0
	v_addc_co_u32_e32 v8, vcc, v7, v13, vcc
	s_waitcnt lgkmcnt(0)
	s_nop 0
	v_addc_co_u32_e32 v11, vcc, 0, v11, vcc
	v_lshl_add_u64 v[6:7], v[8:9], 0, v[10:11]
	v_mad_u64_u32 v[8:9], s[2:3], v6, 10, 0
	v_mov_b32_e32 v6, v9
	v_mad_u64_u32 v[6:7], s[2:3], v7, 10, v[6:7]
	v_sub_co_u32_e32 v1, vcc, v4, v8
	v_lshlrev_b32_e32 v7, 3, v2
	s_nop 0
	v_subb_co_u32_e32 v3, vcc, v5, v6, vcc
	v_subrev_co_u32_e32 v4, vcc, 10, v1
	s_barrier
	s_nop 0
	v_subbrev_co_u32_e32 v5, vcc, 0, v3, vcc
	v_cmp_lt_u32_e32 vcc, 9, v4
	s_nop 1
	v_cndmask_b32_e64 v6, 0, -1, vcc
	v_cmp_eq_u32_e32 vcc, 0, v5
	s_nop 1
	v_cndmask_b32_e32 v5, -1, v6, vcc
	v_add_u32_e32 v6, -10, v4
	v_cmp_ne_u32_e32 vcc, 0, v5
	s_nop 1
	v_cndmask_b32_e32 v4, v4, v6, vcc
	v_cmp_lt_u32_e32 vcc, 9, v1
	s_nop 1
	v_cndmask_b32_e64 v5, 0, -1, vcc
	v_cmp_eq_u32_e32 vcc, 0, v3
	s_nop 1
	v_cndmask_b32_e32 v3, -1, v5, vcc
	v_cmp_ne_u32_e32 vcc, 0, v3
	s_nop 1
	v_cndmask_b32_e32 v1, v1, v4, vcc
	v_mul_u32_u24_e32 v3, 0x65, v1
	v_lshl_add_u32 v8, v3, 3, 0
	v_add_u32_e32 v1, v8, v7
	v_sub_u32_e32 v6, v8, v7
	ds_read_b32 v5, v1
	ds_read_b32 v9, v6 offset:800
	v_cmp_ne_u16_e32 vcc, 0, v2
	s_waitcnt lgkmcnt(0)
	v_add_f32_e32 v4, v9, v5
	v_sub_f32_e32 v5, v5, v9
	s_and_saveexec_b64 s[2:3], vcc
	s_xor_b64 s[2:3], exec, s[2:3]
	s_cbranch_execz .LBB0_29
; %bb.28:
	v_lshlrev_b32_e32 v8, 3, v2
	global_load_dwordx2 v[8:9], v8, s[12:13] offset:720
	ds_read_b32 v13, v6 offset:804
	ds_read_b32 v14, v1 offset:4
	v_mov_b32_e32 v10, v5
	v_mov_b32_e32 v12, v4
	;; [unrolled: 1-line block ×3, first 2 shown]
	s_waitcnt lgkmcnt(0)
	v_add_f32_e32 v11, v13, v14
	v_sub_f32_e32 v13, v14, v13
	v_mov_b32_e32 v14, v11
	s_waitcnt vmcnt(0)
	v_pk_mul_f32 v[16:17], v[10:11], v[8:9] op_sel:[0,1]
	v_pk_fma_f32 v[10:11], v[10:11], v[8:9], v[12:13] op_sel:[0,1,0]
	v_mov_b32_e32 v5, v17
	v_mov_b32_e32 v17, v13
	v_pk_fma_f32 v[18:19], v[8:9], v[14:15], v[10:11] neg_lo:[1,0,0] neg_hi:[1,0,0]
	v_pk_fma_f32 v[10:11], v[8:9], v[14:15], v[10:11] op_sel_hi:[0,1,1]
	v_pk_add_f32 v[4:5], v[4:5], v[16:17] neg_lo:[0,1] neg_hi:[0,1]
	v_mov_b32_e32 v19, v11
	v_pk_fma_f32 v[4:5], v[8:9], v[14:15], v[4:5] op_sel_hi:[0,1,1]
	ds_write_b64 v6, v[4:5] offset:800
	v_mov_b64_e32 v[4:5], v[18:19]
                                        ; implicit-def: $vgpr8
.LBB0_29:
	s_andn2_saveexec_b64 s[2:3], s[2:3]
	s_cbranch_execz .LBB0_31
; %bb.30:
	ds_read_b64 v[10:11], v8 offset:400
	s_mov_b32 s4, 2.0
	s_mov_b32 s5, -2.0
	s_waitcnt lgkmcnt(0)
	v_pk_mul_f32 v[10:11], v[10:11], s[4:5]
	ds_write_b64 v8, v[10:11] offset:400
.LBB0_31:
	s_or_b64 exec, exec, s[2:3]
	s_add_u32 s2, s12, 0x2d0
	s_addc_u32 s3, s13, 0
	global_load_dwordx2 v[8:9], v7, s[2:3] offset:80
	global_load_dwordx2 v[10:11], v7, s[2:3] offset:160
	;; [unrolled: 1-line block ×3, first 2 shown]
	ds_write_b64 v1, v[4:5]
	ds_read_b64 v[4:5], v6 offset:720
	ds_read_b64 v[14:15], v1 offset:80
	global_load_dwordx2 v[16:17], v7, s[2:3] offset:320
	v_lshlrev_b32_e32 v3, 3, v3
	v_add3_u32 v3, 0, v7, v3
	s_movk_i32 s2, 0x48
	s_waitcnt lgkmcnt(0)
	v_pk_add_f32 v[18:19], v[14:15], v[4:5] neg_lo:[0,1] neg_hi:[0,1]
	v_pk_add_f32 v[4:5], v[14:15], v[4:5]
	v_mov_b32_e32 v14, v18
	v_mov_b32_e32 v15, v5
	;; [unrolled: 1-line block ×6, first 2 shown]
	s_mov_b32 s16, 0x3f737871
	v_mad_u32_u24 v50, v2, s2, v3
	s_mov_b32 s2, 0x3f167918
	s_mov_b32 s4, 0x3e9e377a
	;; [unrolled: 1-line block ×9, first 2 shown]
	v_mul_u32_u24_e32 v2, 9, v2
	v_lshlrev_b32_e32 v2, 3, v2
	s_waitcnt vmcnt(3)
	v_pk_mul_f32 v[24:25], v[14:15], v[8:9] op_sel:[0,1]
	v_pk_fma_f32 v[14:15], v[14:15], v[8:9], v[20:21] op_sel:[0,1,0]
	v_mov_b32_e32 v5, v25
	v_mov_b32_e32 v25, v19
	v_pk_fma_f32 v[20:21], v[8:9], v[22:23], v[14:15] neg_lo:[1,0,0] neg_hi:[1,0,0]
	v_pk_fma_f32 v[14:15], v[8:9], v[22:23], v[14:15] op_sel_hi:[0,1,1]
	v_pk_add_f32 v[4:5], v[4:5], v[24:25] neg_lo:[0,1] neg_hi:[0,1]
	v_mov_b32_e32 v21, v15
	v_pk_fma_f32 v[4:5], v[8:9], v[22:23], v[4:5] op_sel_hi:[0,1,1]
	ds_write_b64 v1, v[20:21] offset:80
	ds_write_b64 v6, v[4:5] offset:720
	ds_read_b64 v[4:5], v6 offset:640
	ds_read_b64 v[8:9], v1 offset:160
	s_waitcnt lgkmcnt(0)
	v_pk_add_f32 v[14:15], v[8:9], v[4:5] neg_lo:[0,1] neg_hi:[0,1]
	v_pk_add_f32 v[4:5], v[8:9], v[4:5]
	v_mov_b32_e32 v8, v14
	v_mov_b32_e32 v9, v5
	v_mov_b32_e32 v18, v4
	v_mov_b32_e32 v19, v15
	s_waitcnt vmcnt(2)
	v_pk_mul_f32 v[22:23], v[8:9], v[10:11] op_sel:[0,1]
	v_mov_b32_e32 v20, v5
	v_mov_b32_e32 v21, v14
	v_pk_fma_f32 v[8:9], v[8:9], v[10:11], v[18:19] op_sel:[0,1,0]
	v_mov_b32_e32 v5, v23
	v_mov_b32_e32 v23, v15
	v_pk_fma_f32 v[18:19], v[10:11], v[20:21], v[8:9] neg_lo:[1,0,0] neg_hi:[1,0,0]
	v_pk_fma_f32 v[8:9], v[10:11], v[20:21], v[8:9] op_sel_hi:[0,1,1]
	v_pk_add_f32 v[4:5], v[4:5], v[22:23] neg_lo:[0,1] neg_hi:[0,1]
	v_mov_b32_e32 v19, v9
	v_pk_fma_f32 v[4:5], v[10:11], v[20:21], v[4:5] op_sel_hi:[0,1,1]
	ds_write_b64 v1, v[18:19] offset:160
	ds_write_b64 v6, v[4:5] offset:640
	ds_read_b64 v[4:5], v6 offset:560
	ds_read_b64 v[8:9], v1 offset:240
	s_waitcnt lgkmcnt(0)
	v_pk_add_f32 v[10:11], v[8:9], v[4:5] neg_lo:[0,1] neg_hi:[0,1]
	v_pk_add_f32 v[4:5], v[8:9], v[4:5]
	v_mov_b32_e32 v8, v10
	v_mov_b32_e32 v9, v5
	v_mov_b32_e32 v14, v4
	v_mov_b32_e32 v15, v11
	s_waitcnt vmcnt(1)
	v_pk_mul_f32 v[20:21], v[8:9], v[12:13] op_sel:[0,1]
	v_mov_b32_e32 v18, v5
	v_mov_b32_e32 v19, v10
	;; [unrolled: 23-line block ×3, first 2 shown]
	v_pk_fma_f32 v[8:9], v[8:9], v[16:17], v[12:13] op_sel:[0,1,0]
	v_mov_b32_e32 v5, v19
	v_mov_b32_e32 v19, v11
	v_pk_fma_f32 v[12:13], v[16:17], v[14:15], v[8:9] neg_lo:[1,0,0] neg_hi:[1,0,0]
	v_pk_fma_f32 v[8:9], v[16:17], v[14:15], v[8:9] op_sel_hi:[0,1,1]
	v_pk_add_f32 v[4:5], v[4:5], v[18:19] neg_lo:[0,1] neg_hi:[0,1]
	v_mov_b32_e32 v13, v9
	v_pk_fma_f32 v[4:5], v[16:17], v[14:15], v[4:5] op_sel_hi:[0,1,1]
	ds_write_b64 v1, v[12:13] offset:320
	ds_write_b64 v6, v[4:5] offset:480
	s_waitcnt lgkmcnt(0)
	s_barrier
	s_barrier
	ds_read2_b64 v[4:7], v3 offset0:10 offset1:20
	ds_read2_b64 v[8:11], v3 offset0:30 offset1:40
	ds_read_b64 v[20:21], v1
	ds_read_b64 v[22:23], v3 offset:720
	ds_read2_b64 v[12:15], v3 offset0:50 offset1:60
	ds_read2_b64 v[16:19], v3 offset0:70 offset1:80
	s_waitcnt lgkmcnt(4)
	v_mov_b32_e32 v30, v8
	v_mov_b32_e32 v36, v9
	s_waitcnt lgkmcnt(2)
	v_pk_add_f32 v[26:27], v[8:9], v[22:23]
	s_waitcnt lgkmcnt(1)
	v_mov_b32_e32 v28, v12
	s_waitcnt lgkmcnt(0)
	v_mov_b32_e32 v29, v16
	v_mov_b32_e32 v31, v22
	v_mov_b32_e32 v34, v13
	v_mov_b32_e32 v35, v17
	v_mov_b32_e32 v37, v23
	v_pk_add_f32 v[32:33], v[4:5], v[8:9]
	v_fma_f32 v51, -0.5, v26, v4
	v_pk_add_f32 v[28:29], v[28:29], v[30:31] neg_lo:[0,1] neg_hi:[0,1]
	v_fma_f32 v52, -0.5, v27, v5
	v_pk_add_f32 v[26:27], v[34:35], v[36:37] neg_lo:[0,1] neg_hi:[0,1]
	v_pk_add_f32 v[30:31], v[32:33], v[12:13]
	v_mov_b32_e32 v32, v29
	v_mov_b32_e32 v34, v27
	v_pk_add_f32 v[28:29], v[28:29], v[32:33]
	v_pk_add_f32 v[26:27], v[26:27], v[34:35]
	;; [unrolled: 1-line block ×3, first 2 shown]
	v_pk_add_f32 v[34:35], v[6:7], v[18:19] neg_lo:[0,1] neg_hi:[0,1]
	v_pk_fma_f32 v[32:33], v[32:33], 0.5, v[20:21] op_sel_hi:[1,0,1] neg_lo:[1,0,0] neg_hi:[1,0,0]
	v_pk_mul_f32 v[36:37], v[34:35], s[16:17] op_sel_hi:[1,0]
	v_pk_add_f32 v[38:39], v[10:11], v[14:15] neg_lo:[0,1] neg_hi:[0,1]
	v_pk_add_f32 v[42:43], v[6:7], v[10:11] neg_lo:[0,1] neg_hi:[0,1]
	;; [unrolled: 1-line block ×3, first 2 shown]
	v_pk_mul_f32 v[40:41], v[38:39], s[2:3] op_sel_hi:[1,0]
	v_pk_add_f32 v[42:43], v[42:43], v[44:45]
	v_pk_add_f32 v[44:45], v[32:33], v[36:37] op_sel:[0,1] op_sel_hi:[1,0] neg_lo:[0,1] neg_hi:[0,1]
	v_pk_add_f32 v[32:33], v[32:33], v[36:37] op_sel:[0,1] op_sel_hi:[1,0]
	v_pk_add_f32 v[36:37], v[44:45], v[40:41] op_sel:[0,1] op_sel_hi:[1,0] neg_lo:[0,1] neg_hi:[0,1]
	v_pk_add_f32 v[44:45], v[12:13], v[16:17]
	v_pk_add_f32 v[30:31], v[30:31], v[16:17]
	v_pk_fma_f32 v[4:5], v[44:45], 0.5, v[4:5] op_sel_hi:[1,0,1] neg_lo:[1,0,0] neg_hi:[1,0,0]
	v_pk_add_f32 v[44:45], v[8:9], v[22:23] neg_lo:[0,1] neg_hi:[0,1]
	v_pk_add_f32 v[8:9], v[8:9], v[12:13] neg_lo:[0,1] neg_hi:[0,1]
	v_pk_mul_f32 v[46:47], v[44:45], s[16:17] op_sel_hi:[1,0]
	v_pk_add_f32 v[12:13], v[12:13], v[16:17] neg_lo:[0,1] neg_hi:[0,1]
	v_pk_add_f32 v[30:31], v[30:31], v[22:23]
	v_pk_add_f32 v[32:33], v[32:33], v[40:41] op_sel:[0,1] op_sel_hi:[1,0]
	v_pk_add_f32 v[48:49], v[4:5], v[46:47] op_sel:[0,1] op_sel_hi:[1,0]
	v_pk_add_f32 v[22:23], v[22:23], v[16:17] neg_lo:[0,1] neg_hi:[0,1]
	v_pk_add_f32 v[4:5], v[4:5], v[46:47] op_sel:[0,1] op_sel_hi:[1,0] neg_lo:[0,1] neg_hi:[0,1]
	v_pk_mul_f32 v[16:17], v[12:13], s[2:3] op_sel_hi:[1,0]
	v_mov_b32_e32 v40, v36
	v_mov_b32_e32 v41, v33
	v_pk_add_f32 v[8:9], v[8:9], v[22:23]
	v_pk_add_f32 v[22:23], v[16:17], v[48:49] op_sel:[1,0] op_sel_hi:[0,1]
	v_pk_add_f32 v[4:5], v[4:5], v[16:17] op_sel:[0,1] op_sel_hi:[1,0] neg_lo:[0,1] neg_hi:[0,1]
	v_pk_fma_f32 v[40:41], v[42:43], s[4:5], v[40:41] op_sel_hi:[1,0,1]
	v_pk_fma_f32 v[16:17], v[8:9], s[4:5], v[22:23] op_sel_hi:[1,0,1]
	s_mov_b32 s5, s2
	v_mov_b32_e32 v22, v4
	v_pk_fma_f32 v[22:23], v[8:9], s[4:5], v[22:23] op_sel_hi:[1,0,1]
	v_mov_b32_e32 v29, v45
	v_pk_fma_f32 v[4:5], v[8:9], s[4:5], v[4:5] op_sel_hi:[1,0,1]
	v_pk_mul_f32 v[8:9], v[22:23], s[2:3] op_sel_hi:[1,0]
	v_fmamk_f32 v33, v13, 0x3f737871, v51
	v_fmac_f32_e32 v51, 0xbf737871, v13
	v_fmamk_f32 v36, v12, 0xbf737871, v52
	v_mov_b32_e32 v27, v44
	v_fmac_f32_e32 v52, 0x3f737871, v12
	v_pk_fma_f32 v[12:13], v[22:23], s[18:19], v[8:9] op_sel:[0,0,1] op_sel_hi:[1,0,0] neg_lo:[0,0,1] neg_hi:[0,0,1]
	v_pk_fma_f32 v[8:9], v[22:23], s[18:19], v[8:9] op_sel:[0,0,1] op_sel_hi:[1,0,0]
	v_pk_mul_f32 v[28:29], v[28:29], s[4:5]
	v_pk_add_f32 v[24:25], v[20:21], v[6:7]
	v_sub_f32_e32 v8, v33, v29
	v_add_f32_e32 v13, v29, v51
	v_pk_mul_f32 v[26:27], v[26:27], s[4:5]
	v_pk_add_f32 v[24:25], v[24:25], v[10:11]
	v_add_f32_e32 v8, v28, v8
	v_add_f32_e32 v28, v28, v13
	;; [unrolled: 1-line block ×3, first 2 shown]
	v_pk_add_f32 v[24:25], v[24:25], v[14:15]
	v_add_f32_e32 v36, v26, v13
	v_sub_f32_e32 v13, v52, v27
	v_pk_add_f32 v[24:25], v[24:25], v[18:19]
	v_add_f32_e32 v26, v26, v13
	v_mov_b32_e32 v13, v9
	v_pk_add_f32 v[22:23], v[24:25], v[30:31]
	v_pk_add_f32 v[44:45], v[40:41], v[12:13]
	s_barrier
	ds_write2_b64 v50, v[22:23], v[44:45] offset1:1
	v_pk_add_f32 v[22:23], v[6:7], v[18:19]
	v_pk_add_f32 v[6:7], v[10:11], v[6:7] neg_lo:[0,1] neg_hi:[0,1]
	v_pk_add_f32 v[10:11], v[14:15], v[18:19] neg_lo:[0,1] neg_hi:[0,1]
	v_pk_fma_f32 v[20:21], v[22:23], 0.5, v[20:21] op_sel_hi:[1,0,1] neg_lo:[1,0,0] neg_hi:[1,0,0]
	v_pk_add_f32 v[6:7], v[6:7], v[10:11]
	v_pk_mul_f32 v[10:11], v[38:39], s[16:17] op_sel_hi:[1,0]
	v_pk_mul_f32 v[14:15], v[34:35], s[2:3] op_sel_hi:[1,0]
	v_pk_add_f32 v[18:19], v[20:21], v[10:11] op_sel:[0,1] op_sel_hi:[1,0]
	v_pk_add_f32 v[10:11], v[20:21], v[10:11] op_sel:[0,1] op_sel_hi:[1,0] neg_lo:[0,1] neg_hi:[0,1]
	s_mov_b32 s17, s4
	v_pk_add_f32 v[10:11], v[10:11], v[14:15] op_sel:[0,1] op_sel_hi:[1,0]
	v_pk_add_f32 v[14:15], v[18:19], v[14:15] op_sel:[0,1] op_sel_hi:[1,0] neg_lo:[0,1] neg_hi:[0,1]
	v_pk_mul_f32 v[20:21], v[36:37], s[16:17] op_sel_hi:[0,1]
	v_mov_b32_e32 v18, v14
	v_mov_b32_e32 v19, v11
	v_pk_fma_f32 v[22:23], v[8:9], s[22:23], v[20:21] neg_lo:[0,0,1] neg_hi:[0,0,1]
	v_pk_fma_f32 v[8:9], v[8:9], s[22:23], v[20:21] op_sel_hi:[0,1,1]
	v_pk_mul_f32 v[20:21], v[26:27], s[16:17] op_sel_hi:[0,1]
	v_mov_b32_e32 v11, v15
	v_pk_fma_f32 v[18:19], v[6:7], s[4:5], v[18:19] op_sel_hi:[1,0,1]
	v_mov_b32_e32 v23, v9
	v_pk_fma_f32 v[20:21], v[28:29], s[20:21], v[20:21] op_sel_hi:[0,1,1] neg_lo:[0,0,1] neg_hi:[0,0,1]
	v_pk_fma_f32 v[6:7], v[6:7], s[4:5], v[10:11] op_sel_hi:[1,0,1]
	s_mov_b32 s3, s18
	v_pk_add_f32 v[8:9], v[18:19], v[22:23]
	v_pk_add_f32 v[10:11], v[6:7], v[20:21]
	v_mov_b32_e32 v33, v37
	v_pk_mul_f32 v[4:5], v[4:5], s[2:3] op_sel:[1,0]
	ds_write2_b64 v50, v[8:9], v[10:11] offset0:2 offset1:3
	v_pk_fma_f32 v[8:9], v[42:43], s[4:5], v[32:33] op_sel_hi:[1,0,1]
	v_pk_fma_f32 v[4:5], v[16:17], s[30:31], v[4:5] op_sel_hi:[0,1,1] neg_lo:[0,0,1] neg_hi:[0,0,1]
	v_pk_add_f32 v[10:11], v[8:9], v[4:5]
	v_pk_add_f32 v[14:15], v[24:25], v[30:31] neg_lo:[0,1] neg_hi:[0,1]
	ds_write2_b64 v50, v[10:11], v[14:15] offset0:4 offset1:5
	v_pk_add_f32 v[10:11], v[40:41], v[12:13] neg_lo:[0,1] neg_hi:[0,1]
	v_pk_add_f32 v[12:13], v[18:19], v[22:23] neg_lo:[0,1] neg_hi:[0,1]
	;; [unrolled: 1-line block ×4, first 2 shown]
	ds_write2_b64 v50, v[10:11], v[12:13] offset0:6 offset1:7
	ds_write2_b64 v50, v[6:7], v[4:5] offset0:8 offset1:9
	s_waitcnt lgkmcnt(0)
	s_barrier
	global_load_dwordx4 v[4:7], v2, s[12:13]
	global_load_dwordx4 v[8:11], v2, s[12:13] offset:16
	global_load_dwordx4 v[12:15], v2, s[12:13] offset:32
	;; [unrolled: 1-line block ×3, first 2 shown]
	global_load_dwordx2 v[36:37], v2, s[12:13] offset:64
	ds_read2_b64 v[20:23], v3 offset0:10 offset1:20
	ds_read2_b64 v[24:27], v3 offset0:30 offset1:40
	;; [unrolled: 1-line block ×4, first 2 shown]
	ds_read_b64 v[38:39], v1
	ds_read_b64 v[40:41], v3 offset:720
	s_mov_b32 s19, s2
	s_waitcnt lgkmcnt(0)
	s_barrier
	s_mul_i32 s12, s15, s28
	s_mul_hi_u32 s13, s14, s28
	s_add_i32 s13, s13, s12
	s_mul_i32 s12, s14, s28
	s_add_u32 s12, s12, s48
	s_addc_u32 s13, s13, s33
	s_and_b64 vcc, exec, s[0:1]
	s_waitcnt vmcnt(4)
	v_pk_mul_f32 v[42:43], v[4:5], v[20:21] op_sel:[0,1]
	s_nop 0
	v_pk_fma_f32 v[44:45], v[4:5], v[20:21], v[42:43] op_sel:[0,0,1] op_sel_hi:[1,0,0]
	v_pk_fma_f32 v[4:5], v[4:5], v[20:21], v[42:43] op_sel:[0,0,1] op_sel_hi:[1,0,0] neg_lo:[1,0,0] neg_hi:[1,0,0]
	v_pk_mul_f32 v[20:21], v[6:7], v[22:23] op_sel:[0,1]
	s_waitcnt vmcnt(2)
	v_mov_b32_e32 v2, v15
	v_pk_fma_f32 v[42:43], v[6:7], v[22:23], v[20:21] op_sel:[0,0,1] op_sel_hi:[1,1,0]
	v_pk_fma_f32 v[6:7], v[6:7], v[22:23], v[20:21] op_sel:[0,0,1] op_sel_hi:[1,0,0] neg_lo:[1,0,0] neg_hi:[1,0,0]
	v_mov_b32_e32 v45, v5
	v_mov_b32_e32 v43, v7
	v_pk_mul_f32 v[6:7], v[8:9], v[24:25] op_sel:[0,1]
	s_nop 0
	v_pk_fma_f32 v[20:21], v[8:9], v[24:25], v[6:7] op_sel:[0,0,1] op_sel_hi:[1,1,0]
	v_pk_fma_f32 v[6:7], v[8:9], v[24:25], v[6:7] op_sel:[0,0,1] op_sel_hi:[1,0,0] neg_lo:[1,0,0] neg_hi:[1,0,0]
	v_pk_mul_f32 v[8:9], v[10:11], v[26:27] op_sel:[0,1]
	v_mov_b32_e32 v21, v7
	v_pk_fma_f32 v[22:23], v[10:11], v[26:27], v[8:9] op_sel:[0,0,1] op_sel_hi:[1,1,0]
	v_pk_fma_f32 v[8:9], v[10:11], v[26:27], v[8:9] op_sel:[0,0,1] op_sel_hi:[1,0,0] neg_lo:[1,0,0] neg_hi:[1,0,0]
	s_nop 0
	v_mov_b32_e32 v23, v9
	v_pk_mul_f32 v[8:9], v[12:13], v[28:29] op_sel:[0,1]
	s_nop 0
	v_pk_fma_f32 v[10:11], v[12:13], v[28:29], v[8:9] op_sel:[0,0,1] op_sel_hi:[1,1,0]
	v_pk_fma_f32 v[8:9], v[12:13], v[28:29], v[8:9] op_sel:[0,0,1] op_sel_hi:[1,0,0] neg_lo:[1,0,0] neg_hi:[1,0,0]
	v_pk_mul_f32 v[12:13], v[30:31], v[2:3] op_sel_hi:[1,0]
	s_waitcnt vmcnt(1)
	v_mov_b32_e32 v2, v19
	v_pk_fma_f32 v[24:25], v[30:31], v[14:15], v[12:13] op_sel:[0,0,1] op_sel_hi:[1,1,0]
	v_pk_fma_f32 v[12:13], v[30:31], v[14:15], v[12:13] op_sel:[0,0,1] op_sel_hi:[1,0,0] neg_lo:[0,0,1] neg_hi:[0,0,1]
	v_mov_b32_e32 v11, v9
	v_mov_b32_e32 v25, v13
	v_pk_mul_f32 v[12:13], v[32:33], v[16:17] op_sel:[0,1]
	v_pk_add_f32 v[28:29], v[38:39], v[42:43]
	v_pk_fma_f32 v[14:15], v[32:33], v[16:17], v[12:13] op_sel:[0,0,1] op_sel_hi:[1,1,0]
	v_pk_fma_f32 v[12:13], v[32:33], v[16:17], v[12:13] op_sel:[0,0,1] op_sel_hi:[1,0,0] neg_lo:[0,0,1] neg_hi:[0,0,1]
	v_pk_mul_f32 v[16:17], v[34:35], v[2:3] op_sel_hi:[1,0]
	v_mov_b32_e32 v15, v13
	v_pk_fma_f32 v[26:27], v[34:35], v[18:19], v[16:17] op_sel:[0,0,1] op_sel_hi:[1,1,0]
	v_pk_fma_f32 v[16:17], v[34:35], v[18:19], v[16:17] op_sel:[0,0,1] op_sel_hi:[1,0,0] neg_lo:[0,0,1] neg_hi:[0,0,1]
	v_pk_add_f32 v[30:31], v[10:11], v[14:15]
	v_mov_b32_e32 v27, v17
	s_waitcnt vmcnt(0)
	v_pk_mul_f32 v[16:17], v[40:41], v[36:37] op_sel:[0,1]
	v_pk_add_f32 v[34:35], v[10:11], v[14:15] neg_lo:[0,1] neg_hi:[0,1]
	v_pk_fma_f32 v[18:19], v[40:41], v[36:37], v[16:17] op_sel:[0,0,1] op_sel_hi:[1,1,0]
	v_pk_fma_f32 v[16:17], v[40:41], v[36:37], v[16:17] op_sel:[0,0,1] op_sel_hi:[1,0,0] neg_lo:[0,0,1] neg_hi:[0,0,1]
	v_mov_b32_e32 v36, v20
	v_mov_b32_e32 v37, v18
	;; [unrolled: 1-line block ×4, first 2 shown]
	v_pk_add_f32 v[46:47], v[36:37], v[40:41] neg_lo:[0,1] neg_hi:[0,1]
	v_mov_b32_e32 v19, v17
	v_mov_b32_e32 v2, v47
	v_pk_add_f32 v[46:47], v[46:47], v[2:3]
	v_fma_f32 v1, -0.5, v30, v44
	v_pk_add_f32 v[32:33], v[20:21], v[18:19] neg_lo:[0,1] neg_hi:[0,1]
	v_mov_b32_e32 v47, v35
	v_fmamk_f32 v4, v33, 0xbf737871, v1
	v_pk_mul_f32 v[46:47], v[46:47], s[4:5]
	v_fmac_f32_e32 v1, 0x3f737871, v33
	v_pk_add_f32 v[36:37], v[40:41], v[36:37] neg_lo:[0,1] neg_hi:[0,1]
	v_sub_f32_e32 v2, v4, v47
	v_add_f32_e32 v1, v47, v1
	v_mov_b32_e32 v6, v37
	v_add_f32_e32 v2, v46, v2
	v_add_f32_e32 v4, v46, v1
	v_pk_add_f32 v[46:47], v[20:21], v[18:19]
	v_mov_b32_e32 v1, v44
	v_pk_add_f32 v[36:37], v[36:37], v[6:7]
	v_fmac_f32_e32 v1, -0.5, v46
	v_mov_b32_e32 v37, v33
	v_fmamk_f32 v8, v35, 0x3f737871, v1
	v_pk_mul_f32 v[36:37], v[36:37], s[4:5]
	v_fmac_f32_e32 v1, 0xbf737871, v35
	v_pk_add_f32 v[20:21], v[44:45], v[20:21]
	v_add_f32_e32 v1, v37, v1
	v_pk_add_f32 v[10:11], v[20:21], v[10:11]
	v_mov_b32_e32 v16, v7
	v_mov_b32_e32 v12, v9
	v_sub_f32_e32 v6, v8, v37
	v_add_f32_e32 v8, v36, v1
	v_pk_add_f32 v[10:11], v[10:11], v[14:15]
	v_fma_f32 v1, -0.5, v31, v5
	v_pk_add_f32 v[14:15], v[16:17], v[12:13] neg_lo:[0,1] neg_hi:[0,1]
	v_pk_add_f32 v[10:11], v[10:11], v[18:19]
	v_fmamk_f32 v19, v32, 0x3f737871, v1
	v_mov_b32_e32 v18, v15
	v_pk_add_f32 v[14:15], v[14:15], v[18:19]
	v_pk_add_f32 v[12:13], v[12:13], v[16:17] neg_lo:[0,1] neg_hi:[0,1]
	v_mov_b32_e32 v15, v34
	v_mov_b32_e32 v16, v13
	v_pk_mul_f32 v[14:15], v[14:15], s[4:5]
	v_fmac_f32_e32 v1, 0xbf737871, v32
	v_pk_add_f32 v[12:13], v[12:13], v[16:17]
	v_add_f32_e32 v7, v15, v19
	v_sub_f32_e32 v1, v1, v15
	v_fmac_f32_e32 v5, -0.5, v47
	v_mov_b32_e32 v13, v32
	v_pk_add_f32 v[30:31], v[22:23], v[24:25]
	v_pk_add_f32 v[32:33], v[42:43], v[26:27] neg_lo:[0,1] neg_hi:[0,1]
	v_add_f32_e32 v6, v36, v6
	v_add_f32_e32 v18, v14, v7
	;; [unrolled: 1-line block ×3, first 2 shown]
	v_fmamk_f32 v1, v34, 0xbf737871, v5
	v_fmac_f32_e32 v5, 0x3f737871, v34
	v_pk_fma_f32 v[30:31], v[30:31], 0.5, v[38:39] op_sel_hi:[1,0,1] neg_lo:[1,0,0] neg_hi:[1,0,0]
	v_pk_mul_f32 v[34:35], v[32:33], s[16:17] op_sel_hi:[1,0]
	v_pk_add_f32 v[36:37], v[22:23], v[24:25] neg_lo:[0,1] neg_hi:[0,1]
	v_pk_add_f32 v[44:45], v[42:43], v[22:23] neg_lo:[0,1] neg_hi:[0,1]
	;; [unrolled: 1-line block ×3, first 2 shown]
	v_pk_mul_f32 v[40:41], v[36:37], s[2:3] op_sel_hi:[1,0]
	v_pk_add_f32 v[44:45], v[44:45], v[46:47]
	v_pk_add_f32 v[46:47], v[30:31], v[34:35] op_sel:[0,1] op_sel_hi:[1,0] neg_lo:[0,1] neg_hi:[0,1]
	v_pk_add_f32 v[30:31], v[30:31], v[34:35] op_sel:[0,1] op_sel_hi:[1,0]
	v_pk_add_f32 v[28:29], v[28:29], v[22:23]
	v_pk_add_f32 v[30:31], v[30:31], v[40:41] op_sel:[0,1] op_sel_hi:[1,0]
	v_pk_add_f32 v[34:35], v[46:47], v[40:41] op_sel:[0,1] op_sel_hi:[1,0] neg_lo:[0,1] neg_hi:[0,1]
	v_pk_mul_f32 v[18:19], v[18:19], s[2:3] op_sel_hi:[0,1]
	v_pk_add_f32 v[28:29], v[28:29], v[24:25]
	v_pk_mul_f32 v[12:13], v[12:13], s[4:5]
	v_mov_b32_e32 v40, v34
	v_mov_b32_e32 v41, v31
	v_pk_fma_f32 v[46:47], v[2:3], s[18:19], v[18:19] neg_lo:[0,0,1] neg_hi:[0,0,1]
	v_pk_fma_f32 v[18:19], v[2:3], s[18:19], v[18:19] op_sel_hi:[0,1,1]
	v_pk_add_f32 v[28:29], v[28:29], v[26:27]
	v_add_f32_e32 v1, v13, v1
	v_pk_fma_f32 v[40:41], v[44:45], s[4:5], v[40:41] op_sel_hi:[1,0,1]
	v_mov_b32_e32 v47, v19
	v_add_f32_e32 v16, v12, v1
	v_pk_add_f32 v[20:21], v[28:29], v[10:11]
	v_pk_add_f32 v[18:19], v[40:41], v[46:47]
	ds_write2_b64 v3, v[20:21], v[18:19] offset1:10
	v_pk_add_f32 v[20:21], v[22:23], v[42:43] neg_lo:[0,1] neg_hi:[0,1]
	v_pk_add_f32 v[22:23], v[24:25], v[26:27] neg_lo:[0,1] neg_hi:[0,1]
	v_pk_mul_f32 v[16:17], v[16:17], s[16:17] op_sel_hi:[0,1]
	v_pk_add_f32 v[18:19], v[42:43], v[26:27]
	v_pk_add_f32 v[20:21], v[20:21], v[22:23]
	v_pk_fma_f32 v[22:23], v[6:7], s[22:23], v[16:17] neg_lo:[0,0,1] neg_hi:[0,0,1]
	v_pk_fma_f32 v[6:7], v[6:7], s[22:23], v[16:17] op_sel_hi:[0,1,1]
	v_pk_fma_f32 v[18:19], v[18:19], 0.5, v[38:39] op_sel_hi:[1,0,1] neg_lo:[1,0,0] neg_hi:[1,0,0]
	v_mov_b32_e32 v23, v7
	v_pk_mul_f32 v[6:7], v[36:37], s[16:17] op_sel_hi:[1,0]
	v_sub_f32_e32 v1, v5, v13
	v_pk_mul_f32 v[16:17], v[32:33], s[2:3] op_sel_hi:[1,0]
	v_pk_add_f32 v[24:25], v[18:19], v[6:7] op_sel:[0,1] op_sel_hi:[1,0]
	v_pk_add_f32 v[6:7], v[18:19], v[6:7] op_sel:[0,1] op_sel_hi:[1,0] neg_lo:[0,1] neg_hi:[0,1]
	v_add_f32_e32 v12, v12, v1
	v_pk_add_f32 v[6:7], v[6:7], v[16:17] op_sel:[0,1] op_sel_hi:[1,0]
	v_pk_add_f32 v[16:17], v[24:25], v[16:17] op_sel:[0,1] op_sel_hi:[1,0] neg_lo:[0,1] neg_hi:[0,1]
	v_mov_b32_e32 v19, v7
	v_mov_b32_e32 v18, v16
	v_pk_mul_f32 v[12:13], v[12:13], s[16:17] op_sel_hi:[0,1]
	v_mov_b32_e32 v7, v17
	v_pk_fma_f32 v[18:19], v[20:21], s[4:5], v[18:19] op_sel_hi:[1,0,1]
	v_pk_fma_f32 v[8:9], v[8:9], s[20:21], v[12:13] op_sel_hi:[0,1,1] neg_lo:[0,0,1] neg_hi:[0,0,1]
	v_pk_fma_f32 v[6:7], v[20:21], s[4:5], v[6:7] op_sel_hi:[1,0,1]
	v_pk_add_f32 v[24:25], v[18:19], v[22:23]
	v_pk_add_f32 v[12:13], v[6:7], v[8:9]
	ds_write2_b64 v3, v[24:25], v[12:13] offset0:20 offset1:30
	v_pk_mul_f32 v[12:13], v[14:15], s[2:3] op_sel_hi:[0,1]
	s_movk_i32 s2, 0x290
	v_mov_b32_e32 v31, v35
	v_mul_u32_u24_sdwa v1, v0, s2 dst_sel:DWORD dst_unused:UNUSED_PAD src0_sel:WORD_0 src1_sel:DWORD
	v_pk_fma_f32 v[4:5], v[4:5], s[30:31], v[12:13] op_sel_hi:[0,1,1] neg_lo:[0,0,1] neg_hi:[0,0,1]
	v_pk_fma_f32 v[12:13], v[44:45], s[4:5], v[30:31] op_sel_hi:[1,0,1]
	v_lshrrev_b32_e32 v2, 16, v1
	v_pk_add_f32 v[14:15], v[12:13], v[4:5]
	v_pk_add_f32 v[10:11], v[28:29], v[10:11] neg_lo:[0,1] neg_hi:[0,1]
	v_pk_add_f32 v[6:7], v[6:7], v[8:9] neg_lo:[0,1] neg_hi:[0,1]
	;; [unrolled: 1-line block ×3, first 2 shown]
	v_mul_lo_u16_e32 v1, 0x64, v2
	ds_write2_b64 v3, v[14:15], v[10:11] offset0:40 offset1:50
	v_pk_add_f32 v[10:11], v[40:41], v[46:47] neg_lo:[0,1] neg_hi:[0,1]
	v_pk_add_f32 v[14:15], v[18:19], v[22:23] neg_lo:[0,1] neg_hi:[0,1]
	ds_write2_b64 v3, v[6:7], v[4:5] offset0:80 offset1:90
	v_sub_u16_e32 v6, v0, v1
	s_mov_b64 s[2:3], -1
	ds_write2_b64 v3, v[10:11], v[14:15] offset0:60 offset1:70
	s_waitcnt lgkmcnt(0)
	s_barrier
	s_cbranch_vccz .LBB0_33
; %bb.32:
	v_mad_u64_u32 v[0:1], s[0:1], s8, v6, 0
	v_mov_b32_e32 v4, v1
	v_mul_u32_u24_e32 v3, 0x328, v2
	v_lshlrev_b32_e32 v7, 3, v6
	v_mad_u64_u32 v[4:5], s[0:1], s9, v6, v[4:5]
	v_add3_u32 v3, 0, v3, v7
	s_lshl_b64 s[0:1], s[12:13], 3
	ds_read2_b64 v[8:11], v3 offset1:101
	s_add_u32 s0, s6, s0
	v_mov_b32_e32 v1, v4
	s_addc_u32 s1, s7, s1
	v_mul_lo_u32 v5, s11, v2
	v_mul_lo_u32 v4, s10, v2
	v_lshl_add_u64 v[0:1], v[0:1], 3, s[0:1]
	v_lshl_add_u64 v[4:5], v[4:5], 3, v[0:1]
	v_add_u32_e32 v7, 1, v2
	s_waitcnt lgkmcnt(0)
	global_store_dwordx2 v[4:5], v[8:9], off
	v_mad_u64_u32 v[4:5], s[0:1], s10, v7, 0
	v_mov_b32_e32 v8, v5
	v_mad_u64_u32 v[8:9], s[0:1], s11, v7, v[8:9]
	v_mov_b32_e32 v5, v8
	v_lshl_add_u64 v[4:5], v[4:5], 3, v[0:1]
	v_or_b32_e32 v7, 2, v2
	global_store_dwordx2 v[4:5], v[10:11], off
	v_mad_u64_u32 v[4:5], s[0:1], s10, v7, 0
	v_mov_b32_e32 v12, v5
	v_add_u32_e32 v5, 0x400, v3
	ds_read2_b64 v[8:11], v5 offset0:74 offset1:175
	v_mad_u64_u32 v[12:13], s[0:1], s11, v7, v[12:13]
	v_mov_b32_e32 v5, v12
	v_lshl_add_u64 v[4:5], v[4:5], 3, v[0:1]
	v_add_u32_e32 v7, 3, v2
	s_waitcnt lgkmcnt(0)
	global_store_dwordx2 v[4:5], v[8:9], off
	v_mad_u64_u32 v[4:5], s[0:1], s10, v7, 0
	v_mov_b32_e32 v8, v5
	v_mad_u64_u32 v[8:9], s[0:1], s11, v7, v[8:9]
	v_mov_b32_e32 v5, v8
	v_lshl_add_u64 v[4:5], v[4:5], 3, v[0:1]
	v_or_b32_e32 v7, 4, v2
	global_store_dwordx2 v[4:5], v[10:11], off
	v_mad_u64_u32 v[4:5], s[0:1], s10, v7, 0
	v_mov_b32_e32 v12, v5
	v_add_u32_e32 v5, 0x800, v3
	ds_read2_b64 v[8:11], v5 offset0:148 offset1:249
	v_mad_u64_u32 v[12:13], s[0:1], s11, v7, v[12:13]
	v_mov_b32_e32 v5, v12
	v_lshl_add_u64 v[4:5], v[4:5], 3, v[0:1]
	v_add_u32_e32 v7, 5, v2
	s_waitcnt lgkmcnt(0)
	global_store_dwordx2 v[4:5], v[8:9], off
	v_mad_u64_u32 v[4:5], s[0:1], s10, v7, 0
	v_mov_b32_e32 v8, v5
	v_mad_u64_u32 v[8:9], s[0:1], s11, v7, v[8:9]
	v_mov_b32_e32 v5, v8
	v_lshl_add_u64 v[4:5], v[4:5], 3, v[0:1]
	v_or_b32_e32 v7, 6, v2
	global_store_dwordx2 v[4:5], v[10:11], off
	v_mad_u64_u32 v[4:5], s[0:1], s10, v7, 0
	v_mov_b32_e32 v12, v5
	v_add_u32_e32 v5, 0x1000, v3
	ds_read2_b64 v[8:11], v5 offset0:94 offset1:195
	v_mad_u64_u32 v[12:13], s[0:1], s11, v7, v[12:13]
	v_mov_b32_e32 v5, v12
	v_lshl_add_u64 v[4:5], v[4:5], 3, v[0:1]
	v_add_u32_e32 v7, 7, v2
	s_waitcnt lgkmcnt(0)
	global_store_dwordx2 v[4:5], v[8:9], off
	v_mad_u64_u32 v[4:5], s[0:1], s10, v7, 0
	v_mov_b32_e32 v8, v5
	v_mad_u64_u32 v[8:9], s[0:1], s11, v7, v[8:9]
	v_mov_b32_e32 v5, v8
	v_lshl_add_u64 v[4:5], v[4:5], 3, v[0:1]
	v_or_b32_e32 v7, 8, v2
	v_add_u32_e32 v3, 0x1800, v3
	global_store_dwordx2 v[4:5], v[10:11], off
	v_mad_u64_u32 v[4:5], s[0:1], s10, v7, 0
	ds_read2_b64 v[8:11], v3 offset0:40 offset1:141
	v_mov_b32_e32 v12, v5
	v_mad_u64_u32 v[12:13], s[0:1], s11, v7, v[12:13]
	v_mov_b32_e32 v5, v12
	v_lshl_add_u64 v[4:5], v[4:5], 3, v[0:1]
	v_add_u32_e32 v3, 9, v2
	s_waitcnt lgkmcnt(0)
	global_store_dwordx2 v[4:5], v[8:9], off
	v_mad_u64_u32 v[4:5], s[0:1], s10, v3, 0
	v_mov_b32_e32 v8, v5
	v_mad_u64_u32 v[8:9], s[0:1], s11, v3, v[8:9]
	v_mov_b32_e32 v5, v8
	v_lshl_add_u64 v[0:1], v[4:5], 3, v[0:1]
	global_store_dwordx2 v[0:1], v[10:11], off
	s_mov_b64 s[2:3], 0
.LBB0_33:
	s_andn2_b64 vcc, exec, s[2:3]
	s_cbranch_vccnz .LBB0_37
; %bb.34:
	v_mov_b32_e32 v3, 0
	v_lshl_add_u64 v[0:1], s[26:27], 0, v[2:3]
	v_cmp_gt_u64_e32 vcc, s[24:25], v[0:1]
	s_and_saveexec_b64 s[0:1], vcc
	s_cbranch_execz .LBB0_37
; %bb.35:
	v_mad_u64_u32 v[4:5], s[0:1], s8, v6, 0
	v_mov_b32_e32 v8, v5
	v_mad_u64_u32 v[8:9], s[0:1], s9, v6, v[8:9]
	s_lshl_b64 s[0:1], s[12:13], 3
	s_add_u32 s0, s6, s0
	v_mov_b32_e32 v5, v8
	s_addc_u32 s1, s7, s1
	v_lshl_add_u64 v[4:5], v[4:5], 3, s[0:1]
	v_mul_u32_u24_e32 v3, 0x328, v2
	v_lshlrev_b32_e32 v6, 3, v6
	s_mov_b32 s1, 0
	v_add3_u32 v3, v3, v6, 0
	s_mov_b64 s[2:3], 0
	s_mov_b32 s0, s1
.LBB0_36:                               ; =>This Inner Loop Header: Depth=1
	v_add_u32_e32 v13, s0, v2
	ds_read_b64 v[6:7], v3
	s_add_i32 s0, s0, 1
	v_mad_u64_u32 v[8:9], s[4:5], s10, v13, 0
	v_lshl_add_u64 v[10:11], v[0:1], 0, s[0:1]
	v_mov_b32_e32 v12, v9
	v_cmp_le_u64_e32 vcc, s[24:25], v[10:11]
	v_mad_u64_u32 v[10:11], s[4:5], s11, v13, v[12:13]
	v_mov_b32_e32 v9, v10
	v_add_u32_e32 v3, 0x328, v3
	s_or_b64 s[2:3], vcc, s[2:3]
	v_lshl_add_u64 v[8:9], v[8:9], 3, v[4:5]
	s_waitcnt lgkmcnt(0)
	global_store_dwordx2 v[8:9], v[6:7], off
	s_andn2_b64 exec, exec, s[2:3]
	s_cbranch_execnz .LBB0_36
.LBB0_37:
	s_endpgm
.LBB0_38:
                                        ; implicit-def: $vgpr8_vgpr9
	s_branch .LBB0_20
	.section	.rodata,"a",@progbits
	.p2align	6, 0x0
	.amdhsa_kernel fft_rtc_back_len100_factors_10_10_wgs_100_tpt_10_sp_op_CI_CI_sbcr_C2R_dirReg_intrinsicReadWrite
		.amdhsa_group_segment_fixed_size 0
		.amdhsa_private_segment_fixed_size 0
		.amdhsa_kernarg_size 104
		.amdhsa_user_sgpr_count 2
		.amdhsa_user_sgpr_dispatch_ptr 0
		.amdhsa_user_sgpr_queue_ptr 0
		.amdhsa_user_sgpr_kernarg_segment_ptr 1
		.amdhsa_user_sgpr_dispatch_id 0
		.amdhsa_user_sgpr_kernarg_preload_length 0
		.amdhsa_user_sgpr_kernarg_preload_offset 0
		.amdhsa_user_sgpr_private_segment_size 0
		.amdhsa_uses_dynamic_stack 0
		.amdhsa_enable_private_segment 0
		.amdhsa_system_sgpr_workgroup_id_x 1
		.amdhsa_system_sgpr_workgroup_id_y 0
		.amdhsa_system_sgpr_workgroup_id_z 0
		.amdhsa_system_sgpr_workgroup_info 0
		.amdhsa_system_vgpr_workitem_id 0
		.amdhsa_next_free_vgpr 53
		.amdhsa_next_free_sgpr 55
		.amdhsa_accum_offset 56
		.amdhsa_reserve_vcc 1
		.amdhsa_float_round_mode_32 0
		.amdhsa_float_round_mode_16_64 0
		.amdhsa_float_denorm_mode_32 3
		.amdhsa_float_denorm_mode_16_64 3
		.amdhsa_dx10_clamp 1
		.amdhsa_ieee_mode 1
		.amdhsa_fp16_overflow 0
		.amdhsa_tg_split 0
		.amdhsa_exception_fp_ieee_invalid_op 0
		.amdhsa_exception_fp_denorm_src 0
		.amdhsa_exception_fp_ieee_div_zero 0
		.amdhsa_exception_fp_ieee_overflow 0
		.amdhsa_exception_fp_ieee_underflow 0
		.amdhsa_exception_fp_ieee_inexact 0
		.amdhsa_exception_int_div_zero 0
	.end_amdhsa_kernel
	.text
.Lfunc_end0:
	.size	fft_rtc_back_len100_factors_10_10_wgs_100_tpt_10_sp_op_CI_CI_sbcr_C2R_dirReg_intrinsicReadWrite, .Lfunc_end0-fft_rtc_back_len100_factors_10_10_wgs_100_tpt_10_sp_op_CI_CI_sbcr_C2R_dirReg_intrinsicReadWrite
                                        ; -- End function
	.section	.AMDGPU.csdata,"",@progbits
; Kernel info:
; codeLenInByte = 8048
; NumSgprs: 61
; NumVgprs: 53
; NumAgprs: 0
; TotalNumVgprs: 53
; ScratchSize: 0
; MemoryBound: 0
; FloatMode: 240
; IeeeMode: 1
; LDSByteSize: 0 bytes/workgroup (compile time only)
; SGPRBlocks: 7
; VGPRBlocks: 6
; NumSGPRsForWavesPerEU: 61
; NumVGPRsForWavesPerEU: 53
; AccumOffset: 56
; Occupancy: 8
; WaveLimiterHint : 1
; COMPUTE_PGM_RSRC2:SCRATCH_EN: 0
; COMPUTE_PGM_RSRC2:USER_SGPR: 2
; COMPUTE_PGM_RSRC2:TRAP_HANDLER: 0
; COMPUTE_PGM_RSRC2:TGID_X_EN: 1
; COMPUTE_PGM_RSRC2:TGID_Y_EN: 0
; COMPUTE_PGM_RSRC2:TGID_Z_EN: 0
; COMPUTE_PGM_RSRC2:TIDIG_COMP_CNT: 0
; COMPUTE_PGM_RSRC3_GFX90A:ACCUM_OFFSET: 13
; COMPUTE_PGM_RSRC3_GFX90A:TG_SPLIT: 0
	.text
	.p2alignl 6, 3212836864
	.fill 256, 4, 3212836864
	.type	__hip_cuid_fd73b9d929b1717e,@object ; @__hip_cuid_fd73b9d929b1717e
	.section	.bss,"aw",@nobits
	.globl	__hip_cuid_fd73b9d929b1717e
__hip_cuid_fd73b9d929b1717e:
	.byte	0                               ; 0x0
	.size	__hip_cuid_fd73b9d929b1717e, 1

	.ident	"AMD clang version 19.0.0git (https://github.com/RadeonOpenCompute/llvm-project roc-6.4.0 25133 c7fe45cf4b819c5991fe208aaa96edf142730f1d)"
	.section	".note.GNU-stack","",@progbits
	.addrsig
	.addrsig_sym __hip_cuid_fd73b9d929b1717e
	.amdgpu_metadata
---
amdhsa.kernels:
  - .agpr_count:     0
    .args:
      - .actual_access:  read_only
        .address_space:  global
        .offset:         0
        .size:           8
        .value_kind:     global_buffer
      - .offset:         8
        .size:           8
        .value_kind:     by_value
      - .actual_access:  read_only
        .address_space:  global
        .offset:         16
        .size:           8
        .value_kind:     global_buffer
      - .actual_access:  read_only
        .address_space:  global
        .offset:         24
        .size:           8
        .value_kind:     global_buffer
      - .actual_access:  read_only
        .address_space:  global
        .offset:         32
        .size:           8
        .value_kind:     global_buffer
      - .offset:         40
        .size:           8
        .value_kind:     by_value
      - .actual_access:  read_only
        .address_space:  global
        .offset:         48
        .size:           8
        .value_kind:     global_buffer
      - .actual_access:  read_only
        .address_space:  global
        .offset:         56
        .size:           8
        .value_kind:     global_buffer
      - .offset:         64
        .size:           4
        .value_kind:     by_value
      - .actual_access:  read_only
        .address_space:  global
        .offset:         72
        .size:           8
        .value_kind:     global_buffer
      - .actual_access:  read_only
        .address_space:  global
        .offset:         80
        .size:           8
        .value_kind:     global_buffer
      - .actual_access:  read_only
        .address_space:  global
        .offset:         88
        .size:           8
        .value_kind:     global_buffer
      - .actual_access:  write_only
        .address_space:  global
        .offset:         96
        .size:           8
        .value_kind:     global_buffer
    .group_segment_fixed_size: 0
    .kernarg_segment_align: 8
    .kernarg_segment_size: 104
    .language:       OpenCL C
    .language_version:
      - 2
      - 0
    .max_flat_workgroup_size: 100
    .name:           fft_rtc_back_len100_factors_10_10_wgs_100_tpt_10_sp_op_CI_CI_sbcr_C2R_dirReg_intrinsicReadWrite
    .private_segment_fixed_size: 0
    .sgpr_count:     61
    .sgpr_spill_count: 0
    .symbol:         fft_rtc_back_len100_factors_10_10_wgs_100_tpt_10_sp_op_CI_CI_sbcr_C2R_dirReg_intrinsicReadWrite.kd
    .uniform_work_group_size: 1
    .uses_dynamic_stack: false
    .vgpr_count:     53
    .vgpr_spill_count: 0
    .wavefront_size: 64
amdhsa.target:   amdgcn-amd-amdhsa--gfx950
amdhsa.version:
  - 1
  - 2
...

	.end_amdgpu_metadata
